;; amdgpu-corpus repo=ANL-CESAR/XSBench kind=compiled arch=gfx950 opt=O3
	.amdgcn_target "amdgcn-amd-amdhsa--gfx950"
	.amdhsa_code_object_version 6
	.text
	.protected	_Z25xs_lookup_kernel_baseline6Inputs14SimulationData ; -- Begin function _Z25xs_lookup_kernel_baseline6Inputs14SimulationData
	.globl	_Z25xs_lookup_kernel_baseline6Inputs14SimulationData
	.p2align	8
	.type	_Z25xs_lookup_kernel_baseline6Inputs14SimulationData,@function
_Z25xs_lookup_kernel_baseline6Inputs14SimulationData: ; @_Z25xs_lookup_kernel_baseline6Inputs14SimulationData
; %bb.0:
	s_load_dword s3, s[0:1], 0xcc
	s_load_dword s4, s[0:1], 0x18
	s_waitcnt lgkmcnt(0)
	s_and_b32 s3, s3, 0xffff
	s_mul_i32 s2, s2, s3
	v_add_u32_e32 v0, s2, v0
	v_cmp_gt_i32_e32 vcc, s4, v0
	s_and_saveexec_b64 s[2:3], vcc
	s_cbranch_execz .LBB0_76
; %bb.1:
	s_load_dwordx2 s[22:23], s[0:1], 0x28
	s_load_dwordx8 s[4:11], s[0:1], 0x40
	s_load_dwordx4 s[12:15], s[0:1], 0x60
	s_load_dwordx2 s[20:21], s[0:1], 0x90
	v_cmp_ne_u32_e32 vcc, 0, v0
	v_mov_b32_e32 v2, 0x4a2bcaa7
	v_mov_b32_e32 v1, 0x45df23cb
	s_and_saveexec_b64 s[2:3], vcc
	s_cbranch_execz .LBB0_7
; %bb.2:
	v_lshlrev_b32_e32 v4, 1, v0
	v_ashrrev_i32_e32 v1, 31, v4
	v_and_b32_e32 v5, 0x7fffffff, v1
	v_mov_b64_e32 v[2:3], 1
	s_mov_b64 s[16:17], 0
	s_mov_b32 s27, 0x26f19d38
	s_mov_b32 s26, 0xe48e2825
	s_mov_b64 s[18:19], 1
	v_mov_b64_e32 v[6:7], 0
	s_branch .LBB0_4
.LBB0_3:                                ;   in Loop: Header=BB0_4 Depth=1
	s_or_b64 exec, exec, s[24:25]
	s_add_u32 s24, s26, 1
	s_addc_u32 s25, s27, 0
	s_mul_i32 s19, s24, s19
	s_mul_hi_u32 s28, s24, s18
	s_add_i32 s19, s28, s19
	s_mul_i32 s25, s25, s18
	s_add_i32 s19, s19, s25
	s_mul_i32 s18, s24, s18
	s_mul_i32 s24, s26, s27
	s_mul_hi_u32 s25, s26, s26
	s_add_i32 s25, s25, s24
	s_add_i32 s27, s25, s24
	v_lshrrev_b64 v[8:9], 1, v[4:5]
	v_cmp_gt_u64_e32 vcc, 2, v[4:5]
	s_mul_i32 s26, s26, s26
	s_or_b64 s[16:17], vcc, s[16:17]
	v_mov_b64_e32 v[4:5], v[8:9]
	s_andn2_b64 exec, exec, s[16:17]
	s_cbranch_execz .LBB0_6
.LBB0_4:                                ; =>This Inner Loop Header: Depth=1
	v_and_b32_e32 v1, 1, v4
	v_cmp_eq_u32_e32 vcc, 1, v1
	s_and_saveexec_b64 s[24:25], vcc
	s_cbranch_execz .LBB0_3
; %bb.5:                                ;   in Loop: Header=BB0_4 Depth=1
	v_mul_lo_u32 v1, s27, v2
	v_mul_lo_u32 v8, s26, v3
	v_mad_u64_u32 v[2:3], s[28:29], s26, v2, 0
	v_add3_u32 v3, v3, v8, v1
	v_mov_b64_e32 v[8:9], s[18:19]
	v_mad_u64_u32 v[8:9], s[28:29], s26, v6, v[8:9]
	v_mul_lo_u32 v1, s26, v7
	v_mul_lo_u32 v6, s27, v6
	v_add3_u32 v9, v6, v9, v1
	v_mov_b64_e32 v[6:7], v[8:9]
	s_branch .LBB0_3
.LBB0_6:
	s_or_b64 exec, exec, s[16:17]
	s_movk_i32 s18, 0x42e
	v_mad_u64_u32 v[4:5], s[16:17], v2, s18, v[6:7]
	v_mov_b32_e32 v2, v5
	v_mad_u64_u32 v[2:3], s[16:17], v3, s18, v[2:3]
	s_mov_b32 s16, 0x26f19d38
	s_nop 0
	v_mul_lo_u32 v1, v4, s16
	s_mov_b32 s16, 0xe48e2825
	v_mul_lo_u32 v5, v2, s16
	v_mad_u64_u32 v[2:3], s[16:17], v4, s16, 1
	v_add3_u32 v1, v5, v3, v1
	v_and_b32_e32 v1, 0x7fffffff, v1
.LBB0_7:
	s_or_b64 exec, exec, s[2:3]
	s_mov_b32 s2, 0xe48e2825
	s_load_dwordx4 s[16:19], s[0:1], 0x8
	s_load_dword s44, s[0:1], 0x8c
	v_mad_u64_u32 v[4:5], s[0:1], v2, s2, 1
	s_mov_b32 s0, 0x26f19d38
	s_nop 0
	v_mul_lo_u32 v3, v2, s0
	v_mul_lo_u32 v6, v1, s2
	v_add3_u32 v3, v6, v5, v3
	v_and_b32_e32 v3, 0x7fffffff, v3
	v_cvt_f64_u32_e32 v[6:7], v3
	v_ldexp_f64 v[6:7], v[6:7], 32
	v_cvt_f64_u32_e32 v[4:5], v4
	v_add_f64 v[4:5], v[6:7], v[4:5]
	s_movk_i32 s0, 0xffc1
	v_ldexp_f64 v[4:5], v[4:5], s0
	s_mov_b32 s0, 0x76c8b439
	s_mov_b32 s1, 0x3faa9fbe
	v_cmp_ngt_f64_e32 vcc, s[0:1], v[4:5]
	v_mov_b32_e32 v12, 1
	s_and_saveexec_b64 s[0:1], vcc
	s_cbranch_execz .LBB0_29
; %bb.8:
	s_mov_b32 s2, 0x6872b021
	s_mov_b32 s3, 0x3fd4ed91
	v_cmp_ngt_f64_e32 vcc, s[2:3], v[4:5]
	v_mov_b32_e32 v12, 2
	s_and_saveexec_b64 s[2:3], vcc
	s_cbranch_execz .LBB0_28
; %bb.9:
	;; [unrolled: 7-line block ×10, first 2 shown]
	s_mov_b32 s42, 0xdf3b645b
	s_mov_b32 s43, 0x3feb8d4f
	v_cmp_ngt_f64_e32 vcc, s[42:43], v[4:5]
	v_mov_b32_e32 v12, 11
	s_and_saveexec_b64 s[42:43], vcc
; %bb.18:
	v_mov_b32_e32 v12, 0
; %bb.19:
	s_or_b64 exec, exec, s[42:43]
.LBB0_20:
	s_or_b64 exec, exec, s[40:41]
.LBB0_21:
	s_or_b64 exec, exec, s[38:39]
.LBB0_22:
	s_or_b64 exec, exec, s[36:37]
.LBB0_23:
	s_or_b64 exec, exec, s[34:35]
.LBB0_24:
	s_or_b64 exec, exec, s[30:31]
.LBB0_25:
	s_or_b64 exec, exec, s[28:29]
.LBB0_26:
	s_or_b64 exec, exec, s[26:27]
.LBB0_27:
	s_or_b64 exec, exec, s[24:25]
.LBB0_28:
	s_or_b64 exec, exec, s[2:3]
.LBB0_29:
	s_or_b64 exec, exec, s[0:1]
	v_cvt_f64_u32_e32 v[4:5], v1
	v_ldexp_f64 v[4:5], v[4:5], 32
	v_cvt_f64_u32_e32 v[2:3], v2
	v_add_f64 v[2:3], v[4:5], v[2:3]
	s_movk_i32 s0, 0xffc1
	s_waitcnt lgkmcnt(0)
	s_cmp_lt_i32 s22, 2
	v_ldexp_f64 v[2:3], v[2:3], s0
	s_cbranch_scc1 .LBB0_33
; %bb.30:
	s_cmp_eq_u32 s22, 2
	v_mov_b64_e32 v[16:17], -1
	s_cbranch_scc0 .LBB0_32
; %bb.31:
	v_cvt_f64_i32_e32 v[4:5], s23
	v_div_scale_f64 v[6:7], s[0:1], v[4:5], v[4:5], 1.0
	v_rcp_f64_e32 v[8:9], v[6:7]
	v_div_scale_f64 v[10:11], vcc, 1.0, v[4:5], 1.0
	v_fma_f64 v[14:15], -v[6:7], v[8:9], 1.0
	v_fmac_f64_e32 v[8:9], v[8:9], v[14:15]
	v_fma_f64 v[14:15], -v[6:7], v[8:9], 1.0
	v_fmac_f64_e32 v[8:9], v[8:9], v[14:15]
	v_mul_f64 v[14:15], v[10:11], v[8:9]
	v_fma_f64 v[6:7], -v[6:7], v[14:15], v[10:11]
	v_div_fmas_f64 v[6:7], v[6:7], v[8:9], v[14:15]
	v_div_fixup_f64 v[4:5], v[6:7], v[4:5], 1.0
	v_div_scale_f64 v[6:7], s[0:1], v[4:5], v[4:5], v[2:3]
	v_rcp_f64_e32 v[8:9], v[6:7]
	s_movk_i32 s0, 0xffe0
	v_fma_f64 v[10:11], -v[6:7], v[8:9], 1.0
	v_fmac_f64_e32 v[8:9], v[8:9], v[10:11]
	v_fma_f64 v[10:11], -v[6:7], v[8:9], 1.0
	v_fmac_f64_e32 v[8:9], v[8:9], v[10:11]
	v_div_scale_f64 v[10:11], vcc, v[2:3], v[4:5], v[2:3]
	v_mul_f64 v[14:15], v[10:11], v[8:9]
	v_fma_f64 v[6:7], -v[6:7], v[14:15], v[10:11]
	s_nop 1
	v_div_fmas_f64 v[6:7], v[6:7], v[8:9], v[14:15]
	v_div_fixup_f64 v[4:5], v[6:7], v[4:5], v[2:3]
	v_trunc_f64_e32 v[4:5], v[4:5]
	v_ldexp_f64 v[6:7], v[4:5], s0
	v_floor_f64_e32 v[6:7], v[6:7]
	v_fmac_f64_e32 v[4:5], 0xc1f00000, v[6:7]
	v_cvt_u32_f64_e32 v16, v[4:5]
	v_cvt_i32_f64_e32 v17, v[6:7]
.LBB0_32:
	s_cbranch_execz .LBB0_34
	s_branch .LBB0_39
.LBB0_33:
                                        ; implicit-def: $vgpr16_vgpr17
.LBB0_34:
	s_cmp_lg_u32 s22, 0
	v_mov_b64_e32 v[16:17], -1
	s_cbranch_scc1 .LBB0_39
; %bb.35:
	s_mul_i32 s0, s18, s17
	s_mul_hi_u32 s1, s18, s16
	s_add_i32 s0, s1, s0
	s_mul_i32 s1, s19, s16
	s_add_i32 s1, s0, s1
	s_mul_i32 s0, s18, s16
	v_cmp_lt_i64_e64 s[2:3], s[0:1], 3
	v_mov_b64_e32 v[16:17], 0
	s_and_b64 vcc, exec, s[2:3]
	s_cbranch_vccnz .LBB0_39
; %bb.36:
	s_add_u32 s2, s0, -1
	s_addc_u32 s3, s1, -1
	s_mov_b64 s[0:1], 0
	v_mov_b64_e32 v[6:7], s[2:3]
	v_mov_b64_e32 v[16:17], 0
	;; [unrolled: 1-line block ×3, first 2 shown]
.LBB0_37:                               ; =>This Inner Loop Header: Depth=1
	v_lshrrev_b64 v[6:7], 1, v[6:7]
	v_lshl_add_u64 v[6:7], v[6:7], 0, v[16:17]
	v_lshl_add_u64 v[8:9], v[6:7], 3, s[10:11]
	global_load_dwordx2 v[8:9], v[8:9], off
	s_waitcnt vmcnt(0)
	v_cmp_gt_f64_e32 vcc, v[8:9], v[2:3]
	s_nop 1
	v_cndmask_b32_e32 v4, v4, v6, vcc
	v_cndmask_b32_e32 v16, v6, v16, vcc
	v_cndmask_b32_e32 v5, v5, v7, vcc
	v_cndmask_b32_e32 v17, v7, v17, vcc
	v_sub_co_u32_e32 v6, vcc, v4, v16
	s_nop 1
	v_subb_co_u32_e32 v7, vcc, v5, v17, vcc
	v_cmp_gt_i64_e32 vcc, 2, v[6:7]
	s_or_b64 s[0:1], vcc, s[0:1]
	s_andn2_b64 exec, exec, s[0:1]
	s_cbranch_execnz .LBB0_37
; %bb.38:
	s_or_b64 exec, exec, s[0:1]
.LBB0_39:
	v_lshlrev_b32_e32 v1, 2, v12
	global_load_dword v32, v1, s[4:5]
	s_mov_b32 s33, 0
	v_mov_b64_e32 v[4:5], 0
	v_mov_b64_e32 v[6:7], 0
	;; [unrolled: 1-line block ×5, first 2 shown]
	s_waitcnt vmcnt(0)
	v_cmp_lt_i32_e32 vcc, 0, v32
	s_and_saveexec_b64 s[4:5], vcc
	s_cbranch_execz .LBB0_75
; %bb.40:
	v_mul_lo_u32 v1, v17, s16
	v_mul_lo_u32 v8, v16, s17
	v_mad_u64_u32 v[6:7], s[0:1], v16, s16, 0
	s_add_u32 s10, s18, -1
	v_mov_b32_e32 v4, s12
	v_mov_b32_e32 v5, s13
	v_add3_u32 v7, v7, v8, v1
	s_addc_u32 s11, s19, -1
	s_add_i32 s0, s23, -1
	v_mul_lo_u32 v33, v12, s44
	v_lshl_add_u64 v[12:13], v[6:7], 2, v[4:5]
	s_ashr_i32 s1, s0, 31
	v_cmp_gt_i64_e64 s[2:3], s[18:19], 2
	v_cmp_ne_u64_e64 s[0:1], s[0:1], v[16:17]
	v_lshl_add_u64 v[16:17], s[16:17], 2, v[12:13]
	v_cndmask_b32_e64 v1, 0, 1, s[2:3]
	s_movk_i32 s16, 0xffa0
	s_add_i32 s23, s18, -1
	v_mov_b64_e32 v[4:5], 0
	s_mov_b64 s[12:13], 0
	v_cmp_ne_u32_e64 s[2:3], 1, v1
	s_mov_b32 s17, -1
	v_not_b32_e32 v34, 47
	v_mov_b64_e32 v[6:7], 0
	v_mov_b64_e32 v[8:9], 0
	;; [unrolled: 1-line block ×4, first 2 shown]
	s_branch .LBB0_42
.LBB0_41:                               ;   in Loop: Header=BB0_42 Depth=1
	global_load_dwordx4 v[20:23], v[24:25], off offset:48
	global_load_dwordx4 v[26:29], v[24:25], off
	global_load_dwordx4 v[36:39], v[24:25], off offset:16
	global_load_dwordx4 v[40:43], v[24:25], off offset:64
	;; [unrolled: 1-line block ×4, first 2 shown]
	s_add_i32 s33, s33, 1
	v_cmp_eq_u32_e32 vcc, s33, v32
	s_or_b64 s[12:13], vcc, s[12:13]
	s_waitcnt vmcnt(5)
	v_add_f64 v[24:25], v[20:21], -v[2:3]
	s_waitcnt vmcnt(4)
	v_add_f64 v[20:21], v[20:21], -v[26:27]
	v_add_f64 v[26:27], v[22:23], -v[28:29]
	s_waitcnt vmcnt(2)
	v_add_f64 v[30:31], v[42:43], -v[38:39]
	v_div_scale_f64 v[38:39], s[24:25], v[20:21], v[20:21], v[24:25]
	v_add_f64 v[28:29], v[40:41], -v[36:37]
	s_waitcnt vmcnt(0)
	v_add_f64 v[36:37], v[44:45], -v[48:49]
	v_rcp_f64_e32 v[48:49], v[38:39]
	v_div_scale_f64 v[52:53], vcc, v[24:25], v[20:21], v[24:25]
	v_add_f64 v[50:51], v[46:47], -v[50:51]
	v_fma_f64 v[54:55], -v[38:39], v[48:49], 1.0
	v_fmac_f64_e32 v[48:49], v[48:49], v[54:55]
	v_fma_f64 v[54:55], -v[38:39], v[48:49], 1.0
	v_fmac_f64_e32 v[48:49], v[48:49], v[54:55]
	v_mul_f64 v[54:55], v[52:53], v[48:49]
	v_fma_f64 v[38:39], -v[38:39], v[54:55], v[52:53]
	v_div_fmas_f64 v[38:39], v[38:39], v[48:49], v[54:55]
	v_div_fixup_f64 v[20:21], v[38:39], v[20:21], v[24:25]
	v_fma_f64 v[22:23], -v[20:21], v[26:27], v[22:23]
	v_fma_f64 v[24:25], -v[20:21], v[28:29], v[40:41]
	;; [unrolled: 1-line block ×5, first 2 shown]
	v_fmac_f64_e32 v[14:15], v[18:19], v[22:23]
	v_fmac_f64_e32 v[10:11], v[18:19], v[24:25]
	;; [unrolled: 1-line block ×5, first 2 shown]
	s_andn2_b64 exec, exec, s[12:13]
	s_cbranch_execz .LBB0_74
.LBB0_42:                               ; =>This Loop Header: Depth=1
                                        ;     Child Loop BB0_46 Depth 2
                                        ;     Child Loop BB0_64 Depth 2
	v_add_u32_e32 v18, s33, v33
	v_ashrrev_i32_e32 v19, 31, v18
	v_lshl_add_u64 v[20:21], v[18:19], 2, s[8:9]
	global_load_dword v20, v[20:21], off
	v_lshl_add_u64 v[18:19], v[18:19], 3, s[6:7]
	global_load_dwordx2 v[18:19], v[18:19], off
	s_mov_b64 s[28:29], -1
	s_mov_b64 s[24:25], 0
	s_cmp_lt_i32 s22, 1
	s_mov_b64 s[26:27], 0
                                        ; implicit-def: $vgpr24_vgpr25
	s_waitcnt vmcnt(1)
	v_ashrrev_i32_e32 v21, 31, v20
	s_cbranch_scc1 .LBB0_50
; %bb.43:                               ;   in Loop: Header=BB0_42 Depth=1
	s_cmp_eq_u32 s22, 1
	s_mov_b64 s[26:27], -1
                                        ; implicit-def: $vgpr24_vgpr25
	s_cbranch_scc0 .LBB0_56
; %bb.44:                               ;   in Loop: Header=BB0_42 Depth=1
	v_mul_lo_u32 v1, s19, v20
	v_mul_lo_u32 v24, s18, v21
	v_mad_u64_u32 v[22:23], s[26:27], s18, v20, 0
	v_add3_u32 v1, v23, v24, v1
	v_mad_u64_u32 v[22:23], s[26:27], v22, 48, s[14:15]
	v_mov_b32_e32 v24, v23
	v_mad_u64_u32 v[24:25], s[26:27], v1, 48, v[24:25]
	v_mov_b32_e32 v23, v24
	s_and_b64 vcc, exec, s[2:3]
	v_mov_b64_e32 v[26:27], 0
	s_cbranch_vccnz .LBB0_48
; %bb.45:                               ;   in Loop: Header=BB0_42 Depth=1
	s_mov_b64 s[26:27], 0
	v_mov_b64_e32 v[28:29], s[10:11]
	v_mov_b64_e32 v[26:27], 0
	;; [unrolled: 1-line block ×3, first 2 shown]
.LBB0_46:                               ;   Parent Loop BB0_42 Depth=1
                                        ; =>  This Inner Loop Header: Depth=2
	v_lshrrev_b64 v[28:29], 1, v[28:29]
	v_lshl_add_u64 v[28:29], v[28:29], 0, v[26:27]
	v_mad_u64_u32 v[30:31], s[28:29], v28, 48, v[22:23]
	v_mov_b32_e32 v36, v31
	v_mad_u64_u32 v[36:37], s[28:29], v29, 48, v[36:37]
	v_mov_b32_e32 v31, v36
	global_load_dwordx2 v[30:31], v[30:31], off
	s_waitcnt vmcnt(0)
	v_cmp_gt_f64_e32 vcc, v[30:31], v[2:3]
	s_nop 1
	v_cndmask_b32_e32 v24, v24, v28, vcc
	v_cndmask_b32_e32 v26, v28, v26, vcc
	;; [unrolled: 1-line block ×4, first 2 shown]
	v_sub_co_u32_e32 v28, vcc, v24, v26
	s_nop 1
	v_subb_co_u32_e32 v29, vcc, v25, v27, vcc
	v_cmp_gt_i64_e32 vcc, 2, v[28:29]
	s_or_b64 s[26:27], vcc, s[26:27]
	s_andn2_b64 exec, exec, s[26:27]
	s_cbranch_execnz .LBB0_46
; %bb.47:                               ;   in Loop: Header=BB0_42 Depth=1
	s_or_b64 exec, exec, s[26:27]
.LBB0_48:                               ;   in Loop: Header=BB0_42 Depth=1
	v_cmp_ne_u64_e32 vcc, s[10:11], v[26:27]
                                        ; implicit-def: $vgpr24_vgpr25
	s_and_saveexec_b64 s[26:27], vcc
	s_xor_b64 s[26:27], exec, s[26:27]
	s_cbranch_execz .LBB0_53
; %bb.49:                               ;   in Loop: Header=BB0_42 Depth=1
	v_mad_u64_u32 v[24:25], s[28:29], v26, 48, v[22:23]
	v_mov_b32_e32 v22, v25
	v_mad_u64_u32 v[22:23], s[28:29], v27, 48, v[22:23]
	v_mov_b32_e32 v25, v22
                                        ; implicit-def: $vgpr22_vgpr23
	s_andn2_saveexec_b64 s[26:27], s[26:27]
	s_cbranch_execnz .LBB0_54
	s_branch .LBB0_55
.LBB0_50:                               ;   in Loop: Header=BB0_42 Depth=1
	s_and_b64 vcc, exec, s[28:29]
	s_cbranch_vccz .LBB0_57
; %bb.51:                               ;   in Loop: Header=BB0_42 Depth=1
	s_cmp_lg_u32 s22, 0
	s_mov_b64 s[24:25], -1
	s_cselect_b64 s[26:27], -1, 0
	s_andn2_b64 vcc, exec, s[26:27]
	v_lshl_add_u64 v[22:23], v[20:21], 2, v[12:13]
	s_cbranch_vccz .LBB0_58
.LBB0_52:                               ;   in Loop: Header=BB0_42 Depth=1
	s_and_b64 vcc, exec, s[24:25]
	s_cbranch_vccz .LBB0_41
	s_branch .LBB0_73
.LBB0_53:                               ;   in Loop: Header=BB0_42 Depth=1
	s_andn2_saveexec_b64 s[26:27], s[26:27]
.LBB0_54:                               ;   in Loop: Header=BB0_42 Depth=1
	v_mad_u64_u32 v[22:23], s[28:29], s18, 48, v[22:23]
	v_mov_b32_e32 v24, v23
	v_mad_u64_u32 v[24:25], s[28:29], s19, 48, v[24:25]
	v_mov_b32_e32 v23, v24
	v_lshl_add_u64 v[24:25], v[22:23], 0, s[16:17]
.LBB0_55:                               ;   in Loop: Header=BB0_42 Depth=1
	s_or_b64 exec, exec, s[26:27]
	s_mov_b64 s[26:27], 0
.LBB0_56:                               ;   in Loop: Header=BB0_42 Depth=1
.LBB0_57:                               ;   in Loop: Header=BB0_42 Depth=1
	s_andn2_b64 vcc, exec, s[26:27]
	v_lshl_add_u64 v[22:23], v[20:21], 2, v[12:13]
	s_cbranch_vccnz .LBB0_52
.LBB0_58:                               ;   in Loop: Header=BB0_42 Depth=1
	global_load_dword v24, v[22:23], off
	v_mov_b32_e32 v28, s23
	s_and_saveexec_b64 s[24:25], s[0:1]
	s_cbranch_execz .LBB0_60
; %bb.59:                               ;   in Loop: Header=BB0_42 Depth=1
	v_lshl_add_u64 v[26:27], v[20:21], 2, v[16:17]
	global_load_dword v1, v[26:27], off
	s_waitcnt vmcnt(0)
	v_add_u32_e32 v28, 1, v1
.LBB0_60:                               ;   in Loop: Header=BB0_42 Depth=1
	s_or_b64 exec, exec, s[24:25]
	v_mul_lo_u32 v1, s19, v20
	v_mul_lo_u32 v25, s18, v21
	v_mad_u64_u32 v[26:27], s[24:25], s18, v20, 0
	v_add3_u32 v1, v27, v25, v1
	v_mad_u64_u32 v[26:27], s[24:25], v26, 48, s[14:15]
	v_mov_b32_e32 v30, v27
	v_mad_u64_u32 v[30:31], s[24:25], v1, 48, v[30:31]
	v_mov_b32_e32 v27, v30
	s_waitcnt vmcnt(0)
	v_mad_i64_i32 v[30:31], s[24:25], v24, 48, v[26:27]
	global_load_dwordx2 v[30:31], v[30:31], off
	s_waitcnt vmcnt(0)
	v_cmp_nle_f64_e32 vcc, v[2:3], v[30:31]
	v_mov_b64_e32 v[30:31], 0
	s_and_saveexec_b64 s[24:25], vcc
	s_cbranch_execz .LBB0_68
; %bb.61:                               ;   in Loop: Header=BB0_42 Depth=1
	v_mad_i64_i32 v[30:31], s[26:27], v28, 48, v[26:27]
	global_load_dwordx2 v[30:31], v[30:31], off
	s_waitcnt vmcnt(0)
	v_cmp_nge_f64_e32 vcc, v[2:3], v[30:31]
	v_mov_b64_e32 v[30:31], s[10:11]
	s_and_saveexec_b64 s[26:27], vcc
	s_cbranch_execz .LBB0_67
; %bb.62:                               ;   in Loop: Header=BB0_42 Depth=1
	v_ashrrev_i32_e32 v25, 31, v24
	v_ashrrev_i32_e32 v1, 31, v28
	v_sub_co_u32_e32 v30, vcc, v28, v24
	s_nop 1
	v_subb_co_u32_e32 v31, vcc, v1, v25, vcc
	v_cmp_lt_i64_e32 vcc, 1, v[30:31]
	s_and_saveexec_b64 s[28:29], vcc
	s_cbranch_execz .LBB0_66
; %bb.63:                               ;   in Loop: Header=BB0_42 Depth=1
	s_mov_b64 s[30:31], 0
.LBB0_64:                               ;   Parent Loop BB0_42 Depth=1
                                        ; =>  This Inner Loop Header: Depth=2
	v_lshrrev_b64 v[30:31], 1, v[30:31]
	v_lshl_add_u64 v[30:31], v[30:31], 0, v[24:25]
	v_mad_u64_u32 v[36:37], s[34:35], v30, 48, v[26:27]
	v_mov_b32_e32 v38, v37
	v_mad_u64_u32 v[38:39], s[34:35], v31, 48, v[38:39]
	v_mov_b32_e32 v37, v38
	global_load_dwordx2 v[36:37], v[36:37], off
	s_waitcnt vmcnt(0)
	v_cmp_gt_f64_e32 vcc, v[36:37], v[2:3]
	s_nop 1
	v_cndmask_b32_e32 v28, v28, v30, vcc
	v_cndmask_b32_e32 v24, v30, v24, vcc
	;; [unrolled: 1-line block ×4, first 2 shown]
	v_sub_co_u32_e32 v30, vcc, v28, v24
	s_nop 1
	v_subb_co_u32_e32 v31, vcc, v1, v25, vcc
	v_cmp_gt_i64_e32 vcc, 2, v[30:31]
	s_or_b64 s[30:31], vcc, s[30:31]
	s_andn2_b64 exec, exec, s[30:31]
	s_cbranch_execnz .LBB0_64
; %bb.65:                               ;   in Loop: Header=BB0_42 Depth=1
	s_or_b64 exec, exec, s[30:31]
.LBB0_66:                               ;   in Loop: Header=BB0_42 Depth=1
	s_or_b64 exec, exec, s[28:29]
	v_mov_b64_e32 v[30:31], v[24:25]
.LBB0_67:                               ;   in Loop: Header=BB0_42 Depth=1
	s_or_b64 exec, exec, s[26:27]
.LBB0_68:                               ;   in Loop: Header=BB0_42 Depth=1
	s_or_b64 exec, exec, s[24:25]
	v_ashrrev_i32_e32 v31, 31, v30
	v_cmp_ne_u64_e32 vcc, s[10:11], v[30:31]
                                        ; implicit-def: $vgpr24_vgpr25
	s_and_saveexec_b64 s[24:25], vcc
	s_xor_b64 s[24:25], exec, s[24:25]
; %bb.69:                               ;   in Loop: Header=BB0_42 Depth=1
	v_mad_i64_i32 v[24:25], s[26:27], v30, 48, v[26:27]
                                        ; implicit-def: $vgpr26_vgpr27
; %bb.70:                               ;   in Loop: Header=BB0_42 Depth=1
	s_andn2_saveexec_b64 s[24:25], s[24:25]
; %bb.71:                               ;   in Loop: Header=BB0_42 Depth=1
	v_mad_u64_u32 v[24:25], s[26:27], s18, 48, v[26:27]
	v_mov_b32_e32 v26, v25
	v_mad_u64_u32 v[26:27], s[26:27], s19, 48, v[26:27]
	v_mov_b32_e32 v25, v26
	v_lshl_add_u64 v[24:25], v[24:25], 0, s[16:17]
; %bb.72:                               ;   in Loop: Header=BB0_42 Depth=1
	s_or_b64 exec, exec, s[24:25]
	s_branch .LBB0_41
.LBB0_73:                               ;   in Loop: Header=BB0_42 Depth=1
	global_load_dword v22, v[22:23], off
	v_mul_lo_u32 v1, s19, v20
	v_mul_lo_u32 v23, s18, v21
	v_mad_u64_u32 v[20:21], s[24:25], s18, v20, 0
	v_add3_u32 v1, v21, v23, v1
	v_mad_u64_u32 v[20:21], s[24:25], v20, 48, s[14:15]
	v_mov_b32_e32 v24, v21
	v_mad_u64_u32 v[24:25], s[24:25], v1, 48, v[24:25]
	v_mov_b32_e32 v21, v24
	s_waitcnt vmcnt(0)
	v_ashrrev_i32_e32 v23, 31, v22
	v_cmp_eq_u64_e32 vcc, s[10:11], v[22:23]
	v_mad_i64_i32 v[20:21], s[24:25], v22, 48, v[20:21]
	s_nop 0
	v_cndmask_b32_e64 v23, 0, -1, vcc
	v_cndmask_b32_e32 v22, 0, v34, vcc
	v_lshl_add_u64 v[24:25], v[20:21], 0, v[22:23]
	s_branch .LBB0_41
.LBB0_74:
	s_or_b64 exec, exec, s[12:13]
.LBB0_75:
	s_or_b64 exec, exec, s[4:5]
	v_max_f64 v[2:3], v[14:15], v[14:15]
	v_max_f64 v[2:3], v[2:3], -1.0
	v_cmp_gt_f64_e32 vcc, v[10:11], v[2:3]
	s_nop 1
	v_cndmask_b32_e32 v3, v3, v11, vcc
	v_cndmask_b32_e32 v2, v2, v10, vcc
	v_cmp_gt_f64_e64 s[0:1], v[8:9], v[2:3]
	v_cndmask_b32_e64 v1, 1, 2, vcc
	s_nop 0
	v_cndmask_b32_e64 v3, v3, v9, s[0:1]
	v_cndmask_b32_e64 v2, v2, v8, s[0:1]
	v_cmp_gt_f64_e64 s[2:3], v[6:7], v[2:3]
	v_cndmask_b32_e64 v1, v1, 3, s[0:1]
	s_nop 0
	v_cndmask_b32_e64 v3, v3, v7, s[2:3]
	v_cndmask_b32_e64 v2, v2, v6, s[2:3]
	v_cndmask_b32_e64 v1, v1, 4, s[2:3]
	v_cmp_ngt_f64_e32 vcc, v[4:5], v[2:3]
	v_mov_b32_e32 v3, 0
	s_nop 0
	v_cndmask_b32_e32 v2, 5, v1, vcc
	v_ashrrev_i32_e32 v1, 31, v0
	v_lshl_add_u64 v[0:1], v[0:1], 3, s[20:21]
	global_store_dwordx2 v[0:1], v[2:3], off
.LBB0_76:
	s_endpgm
	.section	.rodata,"a",@progbits
	.p2align	6, 0x0
	.amdhsa_kernel _Z25xs_lookup_kernel_baseline6Inputs14SimulationData
		.amdhsa_group_segment_fixed_size 0
		.amdhsa_private_segment_fixed_size 0
		.amdhsa_kernarg_size 448
		.amdhsa_user_sgpr_count 2
		.amdhsa_user_sgpr_dispatch_ptr 0
		.amdhsa_user_sgpr_queue_ptr 0
		.amdhsa_user_sgpr_kernarg_segment_ptr 1
		.amdhsa_user_sgpr_dispatch_id 0
		.amdhsa_user_sgpr_kernarg_preload_length 0
		.amdhsa_user_sgpr_kernarg_preload_offset 0
		.amdhsa_user_sgpr_private_segment_size 0
		.amdhsa_uses_dynamic_stack 0
		.amdhsa_enable_private_segment 0
		.amdhsa_system_sgpr_workgroup_id_x 1
		.amdhsa_system_sgpr_workgroup_id_y 0
		.amdhsa_system_sgpr_workgroup_id_z 0
		.amdhsa_system_sgpr_workgroup_info 0
		.amdhsa_system_vgpr_workitem_id 0
		.amdhsa_next_free_vgpr 56
		.amdhsa_next_free_sgpr 45
		.amdhsa_accum_offset 56
		.amdhsa_reserve_vcc 1
		.amdhsa_float_round_mode_32 0
		.amdhsa_float_round_mode_16_64 0
		.amdhsa_float_denorm_mode_32 3
		.amdhsa_float_denorm_mode_16_64 3
		.amdhsa_dx10_clamp 1
		.amdhsa_ieee_mode 1
		.amdhsa_fp16_overflow 0
		.amdhsa_tg_split 0
		.amdhsa_exception_fp_ieee_invalid_op 0
		.amdhsa_exception_fp_denorm_src 0
		.amdhsa_exception_fp_ieee_div_zero 0
		.amdhsa_exception_fp_ieee_overflow 0
		.amdhsa_exception_fp_ieee_underflow 0
		.amdhsa_exception_fp_ieee_inexact 0
		.amdhsa_exception_int_div_zero 0
	.end_amdhsa_kernel
	.text
.Lfunc_end0:
	.size	_Z25xs_lookup_kernel_baseline6Inputs14SimulationData, .Lfunc_end0-_Z25xs_lookup_kernel_baseline6Inputs14SimulationData
                                        ; -- End function
	.set _Z25xs_lookup_kernel_baseline6Inputs14SimulationData.num_vgpr, 56
	.set _Z25xs_lookup_kernel_baseline6Inputs14SimulationData.num_agpr, 0
	.set _Z25xs_lookup_kernel_baseline6Inputs14SimulationData.numbered_sgpr, 45
	.set _Z25xs_lookup_kernel_baseline6Inputs14SimulationData.num_named_barrier, 0
	.set _Z25xs_lookup_kernel_baseline6Inputs14SimulationData.private_seg_size, 0
	.set _Z25xs_lookup_kernel_baseline6Inputs14SimulationData.uses_vcc, 1
	.set _Z25xs_lookup_kernel_baseline6Inputs14SimulationData.uses_flat_scratch, 0
	.set _Z25xs_lookup_kernel_baseline6Inputs14SimulationData.has_dyn_sized_stack, 0
	.set _Z25xs_lookup_kernel_baseline6Inputs14SimulationData.has_recursion, 0
	.set _Z25xs_lookup_kernel_baseline6Inputs14SimulationData.has_indirect_call, 0
	.section	.AMDGPU.csdata,"",@progbits
; Kernel info:
; codeLenInByte = 2968
; TotalNumSgprs: 51
; NumVgprs: 56
; NumAgprs: 0
; TotalNumVgprs: 56
; ScratchSize: 0
; MemoryBound: 0
; FloatMode: 240
; IeeeMode: 1
; LDSByteSize: 0 bytes/workgroup (compile time only)
; SGPRBlocks: 6
; VGPRBlocks: 6
; NumSGPRsForWavesPerEU: 51
; NumVGPRsForWavesPerEU: 56
; AccumOffset: 56
; Occupancy: 8
; WaveLimiterHint : 1
; COMPUTE_PGM_RSRC2:SCRATCH_EN: 0
; COMPUTE_PGM_RSRC2:USER_SGPR: 2
; COMPUTE_PGM_RSRC2:TRAP_HANDLER: 0
; COMPUTE_PGM_RSRC2:TGID_X_EN: 1
; COMPUTE_PGM_RSRC2:TGID_Y_EN: 0
; COMPUTE_PGM_RSRC2:TGID_Z_EN: 0
; COMPUTE_PGM_RSRC2:TIDIG_COMP_CNT: 0
; COMPUTE_PGM_RSRC3_GFX90A:ACCUM_OFFSET: 13
; COMPUTE_PGM_RSRC3_GFX90A:TG_SPLIT: 0
	.text
	.p2alignl 6, 3212836864
	.fill 256, 4, 3212836864
	.section	.AMDGPU.gpr_maximums,"",@progbits
	.set amdgpu.max_num_vgpr, 0
	.set amdgpu.max_num_agpr, 0
	.set amdgpu.max_num_sgpr, 0
	.text
	.type	__hip_cuid_189da66c772f79ca,@object ; @__hip_cuid_189da66c772f79ca
	.section	.bss,"aw",@nobits
	.globl	__hip_cuid_189da66c772f79ca
__hip_cuid_189da66c772f79ca:
	.byte	0                               ; 0x0
	.size	__hip_cuid_189da66c772f79ca, 1

	.ident	"AMD clang version 22.0.0git (https://github.com/RadeonOpenCompute/llvm-project roc-7.2.4 26084 f58b06dce1f9c15707c5f808fd002e18c2accf7e)"
	.section	".note.GNU-stack","",@progbits
	.addrsig
	.addrsig_sym __hip_cuid_189da66c772f79ca
	.amdgpu_metadata
---
amdhsa.kernels:
  - .agpr_count:     0
    .args:
      - .offset:         0
        .size:           64
        .value_kind:     by_value
      - .offset:         64
        .size:           128
        .value_kind:     by_value
      - .offset:         192
        .size:           4
        .value_kind:     hidden_block_count_x
      - .offset:         196
        .size:           4
        .value_kind:     hidden_block_count_y
      - .offset:         200
        .size:           4
        .value_kind:     hidden_block_count_z
      - .offset:         204
        .size:           2
        .value_kind:     hidden_group_size_x
      - .offset:         206
        .size:           2
        .value_kind:     hidden_group_size_y
      - .offset:         208
        .size:           2
        .value_kind:     hidden_group_size_z
      - .offset:         210
        .size:           2
        .value_kind:     hidden_remainder_x
      - .offset:         212
        .size:           2
        .value_kind:     hidden_remainder_y
      - .offset:         214
        .size:           2
        .value_kind:     hidden_remainder_z
      - .offset:         232
        .size:           8
        .value_kind:     hidden_global_offset_x
      - .offset:         240
        .size:           8
        .value_kind:     hidden_global_offset_y
      - .offset:         248
        .size:           8
        .value_kind:     hidden_global_offset_z
      - .offset:         256
        .size:           2
        .value_kind:     hidden_grid_dims
    .group_segment_fixed_size: 0
    .kernarg_segment_align: 8
    .kernarg_segment_size: 448
    .language:       OpenCL C
    .language_version:
      - 2
      - 0
    .max_flat_workgroup_size: 1024
    .name:           _Z25xs_lookup_kernel_baseline6Inputs14SimulationData
    .private_segment_fixed_size: 0
    .sgpr_count:     51
    .sgpr_spill_count: 0
    .symbol:         _Z25xs_lookup_kernel_baseline6Inputs14SimulationData.kd
    .uniform_work_group_size: 1
    .uses_dynamic_stack: false
    .vgpr_count:     56
    .vgpr_spill_count: 0
    .wavefront_size: 64
amdhsa.target:   amdgcn-amd-amdhsa--gfx950
amdhsa.version:
  - 1
  - 2
...

	.end_amdgpu_metadata
